;; amdgpu-corpus repo=ROCm/rocFFT kind=compiled arch=gfx906 opt=O3
	.text
	.amdgcn_target "amdgcn-amd-amdhsa--gfx906"
	.amdhsa_code_object_version 6
	.protected	fft_rtc_back_len600_factors_10_6_10_wgs_60_tpt_60_halfLds_dp_ip_CI_unitstride_sbrr_dirReg ; -- Begin function fft_rtc_back_len600_factors_10_6_10_wgs_60_tpt_60_halfLds_dp_ip_CI_unitstride_sbrr_dirReg
	.globl	fft_rtc_back_len600_factors_10_6_10_wgs_60_tpt_60_halfLds_dp_ip_CI_unitstride_sbrr_dirReg
	.p2align	8
	.type	fft_rtc_back_len600_factors_10_6_10_wgs_60_tpt_60_halfLds_dp_ip_CI_unitstride_sbrr_dirReg,@function
fft_rtc_back_len600_factors_10_6_10_wgs_60_tpt_60_halfLds_dp_ip_CI_unitstride_sbrr_dirReg: ; @fft_rtc_back_len600_factors_10_6_10_wgs_60_tpt_60_halfLds_dp_ip_CI_unitstride_sbrr_dirReg
; %bb.0:
	s_load_dwordx2 s[2:3], s[4:5], 0x50
	s_load_dwordx4 s[8:11], s[4:5], 0x0
	s_load_dwordx2 s[12:13], s[4:5], 0x18
	v_mul_u32_u24_e32 v1, 0x445, v0
	v_add_u32_sdwa v5, s6, v1 dst_sel:DWORD dst_unused:UNUSED_PAD src0_sel:DWORD src1_sel:WORD_1
	v_mov_b32_e32 v3, 0
	s_waitcnt lgkmcnt(0)
	v_cmp_lt_u64_e64 s[0:1], s[10:11], 2
	v_mov_b32_e32 v1, 0
	v_mov_b32_e32 v6, v3
	s_and_b64 vcc, exec, s[0:1]
	v_mov_b32_e32 v2, 0
	s_cbranch_vccnz .LBB0_8
; %bb.1:
	s_load_dwordx2 s[0:1], s[4:5], 0x10
	s_add_u32 s6, s12, 8
	s_addc_u32 s7, s13, 0
	v_mov_b32_e32 v1, 0
	v_mov_b32_e32 v2, 0
	s_waitcnt lgkmcnt(0)
	s_add_u32 s14, s0, 8
	s_addc_u32 s15, s1, 0
	s_mov_b64 s[16:17], 1
.LBB0_2:                                ; =>This Inner Loop Header: Depth=1
	s_load_dwordx2 s[18:19], s[14:15], 0x0
                                        ; implicit-def: $vgpr7_vgpr8
	s_waitcnt lgkmcnt(0)
	v_or_b32_e32 v4, s19, v6
	v_cmp_ne_u64_e32 vcc, 0, v[3:4]
	s_and_saveexec_b64 s[0:1], vcc
	s_xor_b64 s[20:21], exec, s[0:1]
	s_cbranch_execz .LBB0_4
; %bb.3:                                ;   in Loop: Header=BB0_2 Depth=1
	v_cvt_f32_u32_e32 v4, s18
	v_cvt_f32_u32_e32 v7, s19
	s_sub_u32 s0, 0, s18
	s_subb_u32 s1, 0, s19
	v_mac_f32_e32 v4, 0x4f800000, v7
	v_rcp_f32_e32 v4, v4
	v_mul_f32_e32 v4, 0x5f7ffffc, v4
	v_mul_f32_e32 v7, 0x2f800000, v4
	v_trunc_f32_e32 v7, v7
	v_mac_f32_e32 v4, 0xcf800000, v7
	v_cvt_u32_f32_e32 v7, v7
	v_cvt_u32_f32_e32 v4, v4
	v_mul_lo_u32 v8, s0, v7
	v_mul_hi_u32 v9, s0, v4
	v_mul_lo_u32 v11, s1, v4
	v_mul_lo_u32 v10, s0, v4
	v_add_u32_e32 v8, v9, v8
	v_add_u32_e32 v8, v8, v11
	v_mul_hi_u32 v9, v4, v10
	v_mul_lo_u32 v11, v4, v8
	v_mul_hi_u32 v13, v4, v8
	v_mul_hi_u32 v12, v7, v10
	v_mul_lo_u32 v10, v7, v10
	v_mul_hi_u32 v14, v7, v8
	v_add_co_u32_e32 v9, vcc, v9, v11
	v_addc_co_u32_e32 v11, vcc, 0, v13, vcc
	v_mul_lo_u32 v8, v7, v8
	v_add_co_u32_e32 v9, vcc, v9, v10
	v_addc_co_u32_e32 v9, vcc, v11, v12, vcc
	v_addc_co_u32_e32 v10, vcc, 0, v14, vcc
	v_add_co_u32_e32 v8, vcc, v9, v8
	v_addc_co_u32_e32 v9, vcc, 0, v10, vcc
	v_add_co_u32_e32 v4, vcc, v4, v8
	v_addc_co_u32_e32 v7, vcc, v7, v9, vcc
	v_mul_lo_u32 v8, s0, v7
	v_mul_hi_u32 v9, s0, v4
	v_mul_lo_u32 v10, s1, v4
	v_mul_lo_u32 v11, s0, v4
	v_add_u32_e32 v8, v9, v8
	v_add_u32_e32 v8, v8, v10
	v_mul_lo_u32 v12, v4, v8
	v_mul_hi_u32 v13, v4, v11
	v_mul_hi_u32 v14, v4, v8
	;; [unrolled: 1-line block ×3, first 2 shown]
	v_mul_lo_u32 v11, v7, v11
	v_mul_hi_u32 v9, v7, v8
	v_add_co_u32_e32 v12, vcc, v13, v12
	v_addc_co_u32_e32 v13, vcc, 0, v14, vcc
	v_mul_lo_u32 v8, v7, v8
	v_add_co_u32_e32 v11, vcc, v12, v11
	v_addc_co_u32_e32 v10, vcc, v13, v10, vcc
	v_addc_co_u32_e32 v9, vcc, 0, v9, vcc
	v_add_co_u32_e32 v8, vcc, v10, v8
	v_addc_co_u32_e32 v9, vcc, 0, v9, vcc
	v_add_co_u32_e32 v4, vcc, v4, v8
	v_addc_co_u32_e32 v9, vcc, v7, v9, vcc
	v_mad_u64_u32 v[7:8], s[0:1], v5, v9, 0
	v_mul_hi_u32 v10, v5, v4
	v_add_co_u32_e32 v11, vcc, v10, v7
	v_addc_co_u32_e32 v12, vcc, 0, v8, vcc
	v_mad_u64_u32 v[7:8], s[0:1], v6, v4, 0
	v_mad_u64_u32 v[9:10], s[0:1], v6, v9, 0
	v_add_co_u32_e32 v4, vcc, v11, v7
	v_addc_co_u32_e32 v4, vcc, v12, v8, vcc
	v_addc_co_u32_e32 v7, vcc, 0, v10, vcc
	v_add_co_u32_e32 v4, vcc, v4, v9
	v_addc_co_u32_e32 v9, vcc, 0, v7, vcc
	v_mul_lo_u32 v10, s19, v4
	v_mul_lo_u32 v11, s18, v9
	v_mad_u64_u32 v[7:8], s[0:1], s18, v4, 0
	v_add3_u32 v8, v8, v11, v10
	v_sub_u32_e32 v10, v6, v8
	v_mov_b32_e32 v11, s19
	v_sub_co_u32_e32 v7, vcc, v5, v7
	v_subb_co_u32_e64 v10, s[0:1], v10, v11, vcc
	v_subrev_co_u32_e64 v11, s[0:1], s18, v7
	v_subbrev_co_u32_e64 v10, s[0:1], 0, v10, s[0:1]
	v_cmp_le_u32_e64 s[0:1], s19, v10
	v_cndmask_b32_e64 v12, 0, -1, s[0:1]
	v_cmp_le_u32_e64 s[0:1], s18, v11
	v_cndmask_b32_e64 v11, 0, -1, s[0:1]
	v_cmp_eq_u32_e64 s[0:1], s19, v10
	v_cndmask_b32_e64 v10, v12, v11, s[0:1]
	v_add_co_u32_e64 v11, s[0:1], 2, v4
	v_addc_co_u32_e64 v12, s[0:1], 0, v9, s[0:1]
	v_add_co_u32_e64 v13, s[0:1], 1, v4
	v_addc_co_u32_e64 v14, s[0:1], 0, v9, s[0:1]
	v_subb_co_u32_e32 v8, vcc, v6, v8, vcc
	v_cmp_ne_u32_e64 s[0:1], 0, v10
	v_cmp_le_u32_e32 vcc, s19, v8
	v_cndmask_b32_e64 v10, v14, v12, s[0:1]
	v_cndmask_b32_e64 v12, 0, -1, vcc
	v_cmp_le_u32_e32 vcc, s18, v7
	v_cndmask_b32_e64 v7, 0, -1, vcc
	v_cmp_eq_u32_e32 vcc, s19, v8
	v_cndmask_b32_e32 v7, v12, v7, vcc
	v_cmp_ne_u32_e32 vcc, 0, v7
	v_cndmask_b32_e64 v7, v13, v11, s[0:1]
	v_cndmask_b32_e32 v8, v9, v10, vcc
	v_cndmask_b32_e32 v7, v4, v7, vcc
.LBB0_4:                                ;   in Loop: Header=BB0_2 Depth=1
	s_andn2_saveexec_b64 s[0:1], s[20:21]
	s_cbranch_execz .LBB0_6
; %bb.5:                                ;   in Loop: Header=BB0_2 Depth=1
	v_cvt_f32_u32_e32 v4, s18
	s_sub_i32 s20, 0, s18
	v_rcp_iflag_f32_e32 v4, v4
	v_mul_f32_e32 v4, 0x4f7ffffe, v4
	v_cvt_u32_f32_e32 v4, v4
	v_mul_lo_u32 v7, s20, v4
	v_mul_hi_u32 v7, v4, v7
	v_add_u32_e32 v4, v4, v7
	v_mul_hi_u32 v4, v5, v4
	v_mul_lo_u32 v7, v4, s18
	v_add_u32_e32 v8, 1, v4
	v_sub_u32_e32 v7, v5, v7
	v_subrev_u32_e32 v9, s18, v7
	v_cmp_le_u32_e32 vcc, s18, v7
	v_cndmask_b32_e32 v7, v7, v9, vcc
	v_cndmask_b32_e32 v4, v4, v8, vcc
	v_add_u32_e32 v8, 1, v4
	v_cmp_le_u32_e32 vcc, s18, v7
	v_cndmask_b32_e32 v7, v4, v8, vcc
	v_mov_b32_e32 v8, v3
.LBB0_6:                                ;   in Loop: Header=BB0_2 Depth=1
	s_or_b64 exec, exec, s[0:1]
	v_mul_lo_u32 v4, v8, s18
	v_mul_lo_u32 v11, v7, s19
	v_mad_u64_u32 v[9:10], s[0:1], v7, s18, 0
	s_load_dwordx2 s[0:1], s[6:7], 0x0
	s_add_u32 s16, s16, 1
	v_add3_u32 v4, v10, v11, v4
	v_sub_co_u32_e32 v5, vcc, v5, v9
	v_subb_co_u32_e32 v4, vcc, v6, v4, vcc
	s_waitcnt lgkmcnt(0)
	v_mul_lo_u32 v4, s0, v4
	v_mul_lo_u32 v6, s1, v5
	v_mad_u64_u32 v[1:2], s[0:1], s0, v5, v[1:2]
	s_addc_u32 s17, s17, 0
	s_add_u32 s6, s6, 8
	v_add3_u32 v2, v6, v2, v4
	v_mov_b32_e32 v4, s10
	v_mov_b32_e32 v5, s11
	s_addc_u32 s7, s7, 0
	v_cmp_ge_u64_e32 vcc, s[16:17], v[4:5]
	s_add_u32 s14, s14, 8
	s_addc_u32 s15, s15, 0
	s_cbranch_vccnz .LBB0_9
; %bb.7:                                ;   in Loop: Header=BB0_2 Depth=1
	v_mov_b32_e32 v5, v7
	v_mov_b32_e32 v6, v8
	s_branch .LBB0_2
.LBB0_8:
	v_mov_b32_e32 v8, v6
	v_mov_b32_e32 v7, v5
.LBB0_9:
	s_lshl_b64 s[0:1], s[10:11], 3
	s_add_u32 s0, s12, s0
	s_addc_u32 s1, s13, s1
	s_load_dwordx2 s[6:7], s[0:1], 0x0
	s_load_dwordx2 s[10:11], s[4:5], 0x20
	v_mov_b32_e32 v66, 0
	v_mov_b32_e32 v67, 0
                                        ; implicit-def: $vgpr10_vgpr11
                                        ; implicit-def: $vgpr14_vgpr15
                                        ; implicit-def: $vgpr18_vgpr19
                                        ; implicit-def: $vgpr22_vgpr23
                                        ; implicit-def: $vgpr26_vgpr27
                                        ; implicit-def: $vgpr34_vgpr35
                                        ; implicit-def: $vgpr38_vgpr39
                                        ; implicit-def: $vgpr42_vgpr43
	s_waitcnt lgkmcnt(0)
	v_mad_u64_u32 v[1:2], s[0:1], s6, v7, v[1:2]
	v_mul_lo_u32 v3, s6, v8
	v_mul_lo_u32 v4, s7, v7
	s_mov_b32 s0, 0x4444445
	v_mul_hi_u32 v5, v0, s0
	v_cmp_gt_u64_e64 s[0:1], s[10:11], v[7:8]
	v_add3_u32 v2, v4, v2, v3
	v_lshlrev_b64 v[64:65], 4, v[1:2]
	v_mul_u32_u24_e32 v3, 60, v5
	v_sub_u32_e32 v68, v0, v3
                                        ; implicit-def: $vgpr6_vgpr7
                                        ; implicit-def: $vgpr2_vgpr3
	s_and_saveexec_b64 s[4:5], s[0:1]
	s_cbranch_execz .LBB0_11
; %bb.10:
	v_mov_b32_e32 v69, 0
	v_mov_b32_e32 v0, s3
	v_add_co_u32_e32 v2, vcc, s2, v64
	v_addc_co_u32_e32 v3, vcc, v0, v65, vcc
	v_lshlrev_b64 v[0:1], 4, v[68:69]
	s_movk_i32 s6, 0x1000
	v_add_co_u32_e32 v28, vcc, v2, v0
	v_addc_co_u32_e32 v29, vcc, v3, v1, vcc
	v_add_co_u32_e32 v30, vcc, s6, v28
	v_addc_co_u32_e32 v31, vcc, 0, v29, vcc
	v_add_co_u32_e32 v44, vcc, 0x2000, v28
	global_load_dwordx4 v[0:3], v[28:29], off
	global_load_dwordx4 v[4:7], v[28:29], off offset:960
	v_addc_co_u32_e32 v45, vcc, 0, v29, vcc
	global_load_dwordx4 v[40:43], v[28:29], off offset:1920
	global_load_dwordx4 v[36:39], v[28:29], off offset:2880
	;; [unrolled: 1-line block ×8, first 2 shown]
	v_mov_b32_e32 v66, v68
	v_mov_b32_e32 v67, v69
.LBB0_11:
	s_or_b64 exec, exec, s[4:5]
	s_waitcnt vmcnt(5)
	v_add_f64 v[28:29], v[40:41], -v[32:33]
	s_waitcnt vmcnt(1)
	v_add_f64 v[30:31], v[12:13], -v[20:21]
	v_add_f64 v[44:45], v[32:33], -v[40:41]
	;; [unrolled: 1-line block ×3, first 2 shown]
	v_add_f64 v[48:49], v[20:21], v[32:33]
	v_add_f64 v[52:53], v[34:35], -v[22:23]
	s_mov_b32 s12, 0x134454ff
	s_mov_b32 s13, 0xbfee6f0e
	;; [unrolled: 1-line block ×3, first 2 shown]
	v_add_f64 v[28:29], v[30:31], v[28:29]
	v_add_f64 v[30:31], v[12:13], v[40:41]
	;; [unrolled: 1-line block ×3, first 2 shown]
	v_add_f64 v[46:47], v[42:43], -v[14:15]
	v_fma_f64 v[48:49], v[48:49], -0.5, v[0:1]
	s_mov_b32 s4, s12
	s_mov_b32 s14, 0x4755a5e
	s_mov_b32 s15, 0xbfe2cf23
	s_mov_b32 s7, 0x3fe2cf23
	v_fma_f64 v[30:31], v[30:31], -0.5, v[0:1]
	s_mov_b32 s6, s14
	s_mov_b32 s10, 0x372fe950
	v_fma_f64 v[50:51], v[46:47], s[12:13], v[48:49]
	v_fma_f64 v[48:49], v[46:47], s[4:5], v[48:49]
	s_mov_b32 s11, 0x3fd3c6ef
	s_waitcnt vmcnt(0)
	v_add_f64 v[58:59], v[16:17], -v[8:9]
	v_add_f64 v[69:70], v[36:37], -v[8:9]
	v_fma_f64 v[54:55], v[52:53], s[4:5], v[30:31]
	v_fma_f64 v[30:31], v[52:53], s[12:13], v[30:31]
	v_add_f64 v[73:74], v[10:11], v[38:39]
	v_fma_f64 v[50:51], v[52:53], s[14:15], v[50:51]
	v_fma_f64 v[48:49], v[52:53], s[6:7], v[48:49]
	v_add_f64 v[75:76], v[24:25], -v[16:17]
	v_add_f64 v[79:80], v[18:19], -v[10:11]
	v_add_f64 v[0:1], v[40:41], v[0:1]
	v_fma_f64 v[52:53], v[46:47], s[14:15], v[54:55]
	v_fma_f64 v[30:31], v[46:47], s[6:7], v[30:31]
	v_add_f64 v[54:55], v[26:27], -v[18:19]
	v_fma_f64 v[50:51], v[28:29], s[10:11], v[50:51]
	v_fma_f64 v[60:61], v[28:29], s[10:11], v[48:49]
	v_add_f64 v[28:29], v[36:37], -v[24:25]
	v_fma_f64 v[73:74], v[73:74], -0.5, v[6:7]
	v_add_f64 v[0:1], v[32:33], v[0:1]
	v_fma_f64 v[48:49], v[44:45], s[10:11], v[52:53]
	v_fma_f64 v[62:63], v[44:45], s[10:11], v[30:31]
	v_add_f64 v[30:31], v[8:9], -v[16:17]
	v_add_f64 v[44:45], v[38:39], -v[10:11]
	v_add_f64 v[52:53], v[8:9], v[36:37]
	s_mov_b32 s16, 0x9b97f4a8
	s_mov_b32 s17, 0x3fe9e377
	v_add_f64 v[0:1], v[20:21], v[0:1]
	s_mov_b32 s19, 0xbfd3c6ef
	s_mov_b32 s18, s10
	v_add_f64 v[28:29], v[30:31], v[28:29]
	v_add_f64 v[30:31], v[16:17], v[24:25]
	v_fma_f64 v[52:53], v[52:53], -0.5, v[4:5]
	v_cmp_gt_u32_e32 vcc, 40, v68
	v_add_f64 v[0:1], v[12:13], v[0:1]
	v_fma_f64 v[30:31], v[30:31], -0.5, v[4:5]
	v_fma_f64 v[56:57], v[54:55], s[4:5], v[52:53]
	v_fma_f64 v[52:53], v[54:55], s[12:13], v[52:53]
	v_add_f64 v[4:5], v[36:37], v[4:5]
	v_fma_f64 v[46:47], v[44:45], s[12:13], v[30:31]
	v_fma_f64 v[30:31], v[44:45], s[4:5], v[30:31]
	;; [unrolled: 1-line block ×4, first 2 shown]
	v_add_f64 v[52:53], v[38:39], -v[26:27]
	v_add_f64 v[4:5], v[24:25], v[4:5]
	v_fma_f64 v[46:47], v[54:55], s[14:15], v[46:47]
	v_fma_f64 v[30:31], v[54:55], s[6:7], v[30:31]
	v_add_f64 v[54:55], v[24:25], -v[36:37]
	v_add_f64 v[4:5], v[16:17], v[4:5]
	v_fma_f64 v[83:84], v[28:29], s[10:11], v[46:47]
	v_add_f64 v[54:55], v[58:59], v[54:55]
	v_add_f64 v[58:59], v[10:11], -v[18:19]
	v_add_f64 v[4:5], v[8:9], v[4:5]
	v_fma_f64 v[81:82], v[54:55], s[10:11], v[56:57]
	v_add_f64 v[52:53], v[58:59], v[52:53]
	v_add_f64 v[58:59], v[18:19], v[26:27]
	v_fma_f64 v[58:59], v[58:59], -0.5, v[6:7]
	v_fma_f64 v[71:72], v[69:70], s[4:5], v[58:59]
	v_fma_f64 v[58:59], v[69:70], s[12:13], v[58:59]
	;; [unrolled: 1-line block ×6, first 2 shown]
	v_add_f64 v[75:76], v[26:27], -v[38:39]
	v_fma_f64 v[85:86], v[69:70], s[14:15], v[73:74]
	v_add_f64 v[79:80], v[79:80], v[75:76]
	v_fma_f64 v[75:76], v[69:70], s[6:7], v[71:72]
	v_fma_f64 v[73:74], v[52:53], s[10:11], v[77:78]
	;; [unrolled: 1-line block ×5, first 2 shown]
	v_add_f64 v[44:45], v[4:5], v[0:1]
	v_add_f64 v[58:59], v[0:1], -v[4:5]
	v_mul_u32_u24_e32 v0, 10, v68
	v_fma_f64 v[75:76], v[79:80], s[10:11], v[75:76]
	v_fma_f64 v[79:80], v[79:80], s[10:11], v[85:86]
	v_mul_f64 v[8:9], v[73:74], s[14:15]
	v_mul_f64 v[28:29], v[77:78], s[14:15]
	v_lshl_add_u32 v0, v0, 3, 0
	v_mul_i32_i24_e32 v1, 0xffffffb8, v68
	v_add_u32_e32 v85, v0, v1
	v_mul_f64 v[16:17], v[75:76], s[12:13]
	v_mul_f64 v[24:25], v[79:80], s[12:13]
	v_fma_f64 v[8:9], v[83:84], s[16:17], v[8:9]
	v_fma_f64 v[16:17], v[81:82], s[10:11], v[16:17]
	v_fma_f64 v[24:25], v[71:72], s[18:19], v[24:25]
	s_mov_b32 s19, 0xbfe9e377
	s_mov_b32 s18, s16
	v_fma_f64 v[36:37], v[69:70], s[18:19], v[28:29]
	v_add_f64 v[46:47], v[50:51], v[8:9]
	v_add_f64 v[28:29], v[50:51], -v[8:9]
	s_movk_i32 s18, 0xffb8
	v_add_f64 v[52:53], v[48:49], v[16:17]
	v_add_f64 v[54:55], v[62:63], v[24:25]
	v_add_f64 v[30:31], v[48:49], -v[16:17]
	v_add_f64 v[48:49], v[62:63], -v[24:25]
	v_add_f64 v[56:57], v[60:61], v[36:37]
	v_add_f64 v[50:51], v[60:61], -v[36:37]
	v_mad_i32_i24 v1, v68, s18, v0
	ds_write_b128 v0, v[44:47]
	ds_write_b128 v0, v[52:55] offset:16
	ds_write_b128 v0, v[56:59] offset:32
	;; [unrolled: 1-line block ×4, first 2 shown]
	s_waitcnt lgkmcnt(0)
	; wave barrier
	s_waitcnt lgkmcnt(0)
	v_add_u32_e32 v4, 0x400, v1
	v_add_u32_e32 v5, 0x800, v1
	ds_read2_b64 v[44:47], v1 offset1:100
	ds_read2_b64 v[60:63], v4 offset0:72 offset1:172
	ds_read2_b64 v[56:59], v5 offset0:144 offset1:244
                                        ; implicit-def: $vgpr54_vgpr55
	s_and_saveexec_b64 s[18:19], vcc
	s_cbranch_execz .LBB0_13
; %bb.12:
	v_add_u32_e32 v1, 0x800, v85
	ds_read2_b64 v[48:51], v1 offset0:4 offset1:104
	v_add_u32_e32 v1, 0xc00, v85
	ds_read2_b64 v[28:31], v85 offset0:60 offset1:160
	ds_read2_b64 v[52:55], v1 offset0:76 offset1:176
.LBB0_13:
	s_or_b64 exec, exec, s[18:19]
	v_add_f64 v[4:5], v[22:23], v[34:35]
	v_add_f64 v[8:9], v[14:15], v[42:43]
	;; [unrolled: 1-line block ×3, first 2 shown]
	v_add_f64 v[12:13], v[40:41], -v[12:13]
	v_add_f64 v[6:7], v[38:39], v[6:7]
	v_add_f64 v[20:21], v[32:33], -v[20:21]
	v_add_f64 v[24:25], v[42:43], -v[34:35]
	;; [unrolled: 1-line block ×3, first 2 shown]
	v_fma_f64 v[4:5], v[4:5], -0.5, v[2:3]
	v_fma_f64 v[1:2], v[8:9], -0.5, v[2:3]
	v_add_f64 v[36:37], v[34:35], -v[42:43]
	v_add_f64 v[16:17], v[34:35], v[16:17]
	v_add_f64 v[8:9], v[22:23], -v[14:15]
	v_mul_f64 v[38:39], v[83:84], s[6:7]
	v_mul_f64 v[40:41], v[81:82], s[4:5]
	v_add_f64 v[24:25], v[32:33], v[24:25]
	v_fma_f64 v[34:35], v[12:13], s[4:5], v[4:5]
	v_fma_f64 v[3:4], v[12:13], s[12:13], v[4:5]
	v_add_f64 v[5:6], v[26:27], v[6:7]
	v_fma_f64 v[42:43], v[20:21], s[12:13], v[1:2]
	v_fma_f64 v[1:2], v[20:21], s[4:5], v[1:2]
	v_add_f64 v[16:17], v[22:23], v[16:17]
	v_add_f64 v[7:8], v[8:9], v[36:37]
	s_waitcnt lgkmcnt(0)
	v_fma_f64 v[22:23], v[20:21], s[6:7], v[34:35]
	v_fma_f64 v[3:4], v[20:21], s[14:15], v[3:4]
	v_add_f64 v[5:6], v[18:19], v[5:6]
	v_fma_f64 v[20:21], v[12:13], s[6:7], v[42:43]
	v_fma_f64 v[1:2], v[12:13], s[14:15], v[1:2]
	v_mul_f64 v[12:13], v[79:80], s[10:11]
	v_mul_f64 v[18:19], v[77:78], s[16:17]
	v_add_f64 v[14:15], v[14:15], v[16:17]
	v_fma_f64 v[26:27], v[24:25], s[10:11], v[22:23]
	v_fma_f64 v[24:25], v[24:25], s[10:11], v[3:4]
	v_add_f64 v[3:4], v[10:11], v[5:6]
	v_fma_f64 v[5:6], v[73:74], s[16:17], v[38:39]
	v_fma_f64 v[32:33], v[7:8], s[10:11], v[20:21]
	;; [unrolled: 1-line block ×4, first 2 shown]
	v_fma_f64 v[12:13], v[71:72], s[4:5], -v[12:13]
	v_fma_f64 v[36:37], v[69:70], s[6:7], -v[18:19]
	; wave barrier
	v_add_f64 v[8:9], v[3:4], v[14:15]
	v_add_f64 v[10:11], v[26:27], v[5:6]
	v_add_f64 v[22:23], v[14:15], -v[3:4]
	v_add_f64 v[4:5], v[26:27], -v[5:6]
	v_add_f64 v[16:17], v[32:33], v[34:35]
	v_add_f64 v[18:19], v[1:2], v[12:13]
	;; [unrolled: 1-line block ×3, first 2 shown]
	v_add_f64 v[6:7], v[32:33], -v[34:35]
	v_add_f64 v[12:13], v[1:2], -v[12:13]
	;; [unrolled: 1-line block ×3, first 2 shown]
	ds_write_b128 v0, v[8:11]
	ds_write_b128 v0, v[16:19] offset:16
	ds_write_b128 v0, v[20:23] offset:32
	;; [unrolled: 1-line block ×4, first 2 shown]
	v_add_u32_e32 v8, 0x400, v85
	s_waitcnt lgkmcnt(0)
	; wave barrier
	s_waitcnt lgkmcnt(0)
	ds_read2_b64 v[20:23], v8 offset0:72 offset1:172
	v_add_u32_e32 v8, 0x800, v85
	ds_read2_b64 v[0:3], v85 offset1:100
	ds_read2_b64 v[16:19], v8 offset0:144 offset1:244
                                        ; implicit-def: $vgpr10_vgpr11
	s_and_saveexec_b64 s[4:5], vcc
	s_cbranch_execz .LBB0_15
; %bb.14:
	v_add_u32_e32 v8, 0x800, v85
	ds_read2_b64 v[12:15], v8 offset0:4 offset1:104
	v_add_u32_e32 v8, 0xc00, v85
	ds_read2_b64 v[4:7], v85 offset0:60 offset1:160
	ds_read2_b64 v[8:11], v8 offset0:76 offset1:176
.LBB0_15:
	s_or_b64 exec, exec, s[4:5]
	s_movk_i32 s4, 0xcd
	v_mul_lo_u16_sdwa v24, v68, s4 dst_sel:DWORD dst_unused:UNUSED_PAD src0_sel:BYTE_0 src1_sel:DWORD
	v_lshrrev_b16_e32 v88, 11, v24
	v_mul_lo_u16_e32 v24, 10, v88
	v_sub_u16_e32 v89, v68, v24
	v_mov_b32_e32 v77, 5
	v_mul_u32_u24_sdwa v24, v89, v77 dst_sel:DWORD dst_unused:UNUSED_PAD src0_sel:BYTE_0 src1_sel:DWORD
	v_lshlrev_b32_e32 v24, 4, v24
	global_load_dwordx4 v[32:35], v24, s[8:9] offset:16
	global_load_dwordx4 v[36:39], v24, s[8:9] offset:32
	;; [unrolled: 1-line block ×4, first 2 shown]
	global_load_dwordx4 v[73:76], v24, s[8:9]
	v_add_u16_e32 v78, 60, v68
	s_mov_b32 s7, 0x3febb67a
	s_waitcnt vmcnt(4)
	v_mul_f64 v[26:27], v[60:61], v[34:35]
	s_waitcnt lgkmcnt(2)
	v_mul_f64 v[24:25], v[20:21], v[34:35]
	s_waitcnt vmcnt(3)
	v_mul_f64 v[34:35], v[22:23], v[38:39]
	v_fma_f64 v[20:21], v[20:21], v[32:33], -v[26:27]
	v_mul_lo_u16_sdwa v26, v78, s4 dst_sel:DWORD dst_unused:UNUSED_PAD src0_sel:BYTE_0 src1_sel:DWORD
	v_fma_f64 v[24:25], v[60:61], v[32:33], v[24:25]
	v_lshrrev_b16_e32 v60, 11, v26
	v_mul_lo_u16_e32 v26, 10, v60
	v_sub_u16_e32 v61, v78, v26
	v_mul_u32_u24_sdwa v26, v61, v77 dst_sel:DWORD dst_unused:UNUSED_PAD src0_sel:BYTE_0 src1_sel:DWORD
	v_lshlrev_b32_e32 v32, 4, v26
	v_mul_f64 v[26:27], v[62:63], v[38:39]
	v_fma_f64 v[62:63], v[62:63], v[36:37], v[34:35]
	global_load_dwordx4 v[77:80], v32, s[8:9] offset:16
	global_load_dwordx4 v[81:84], v32, s[8:9]
	s_mov_b32 s4, 0xe8584caa
	s_mov_b32 s5, 0xbfebb67a
	;; [unrolled: 1-line block ×3, first 2 shown]
	v_fma_f64 v[34:35], v[22:23], v[36:37], -v[26:27]
	s_waitcnt vmcnt(4) lgkmcnt(0)
	v_mul_f64 v[22:23], v[16:17], v[42:43]
	v_mul_f64 v[26:27], v[56:57], v[42:43]
	v_fma_f64 v[36:37], v[56:57], v[40:41], v[22:23]
	v_fma_f64 v[16:17], v[16:17], v[40:41], -v[26:27]
	global_load_dwordx4 v[38:41], v32, s[8:9] offset:32
	s_waitcnt vmcnt(4)
	v_mul_f64 v[22:23], v[18:19], v[71:72]
	v_mul_f64 v[26:27], v[58:59], v[71:72]
	v_fma_f64 v[86:87], v[58:59], v[69:70], v[22:23]
	global_load_dwordx4 v[56:59], v32, s[8:9] offset:48
	v_fma_f64 v[18:19], v[18:19], v[69:70], -v[26:27]
	global_load_dwordx4 v[69:72], v32, s[8:9] offset:64
	s_waitcnt lgkmcnt(0)
	; wave barrier
	s_waitcnt vmcnt(4)
	v_mul_f64 v[26:27], v[48:49], v[79:80]
	v_mul_f64 v[22:23], v[12:13], v[79:80]
	s_waitcnt vmcnt(3)
	v_mul_f64 v[42:43], v[30:31], v[83:84]
	v_fma_f64 v[26:27], v[12:13], v[77:78], -v[26:27]
	v_fma_f64 v[22:23], v[48:49], v[77:78], v[22:23]
	s_waitcnt vmcnt(2)
	v_mul_f64 v[12:13], v[14:15], v[40:41]
	v_mul_f64 v[32:33], v[50:51], v[40:41]
	;; [unrolled: 1-line block ×3, first 2 shown]
	v_fma_f64 v[12:13], v[50:51], v[38:39], v[12:13]
	v_fma_f64 v[32:33], v[14:15], v[38:39], -v[32:33]
	v_mul_f64 v[14:15], v[46:47], v[75:76]
	v_mul_f64 v[38:39], v[6:7], v[83:84]
	v_fma_f64 v[46:47], v[46:47], v[73:74], v[40:41]
	s_waitcnt vmcnt(1)
	v_mul_f64 v[40:41], v[52:53], v[58:59]
	v_mul_f64 v[48:49], v[8:9], v[58:59]
	s_waitcnt vmcnt(0)
	v_mul_f64 v[50:51], v[10:11], v[71:72]
	v_mul_f64 v[58:59], v[54:55], v[71:72]
	v_fma_f64 v[2:3], v[2:3], v[73:74], -v[14:15]
	v_fma_f64 v[14:15], v[30:31], v[81:82], v[38:39]
	v_fma_f64 v[30:31], v[6:7], v[81:82], -v[42:43]
	v_add_f64 v[6:7], v[34:35], v[18:19]
	v_fma_f64 v[38:39], v[8:9], v[56:57], -v[40:41]
	v_add_f64 v[8:9], v[24:25], v[36:37]
	v_fma_f64 v[42:43], v[52:53], v[56:57], v[48:49]
	v_fma_f64 v[52:53], v[54:55], v[69:70], v[50:51]
	v_add_f64 v[48:49], v[62:63], v[86:87]
	v_add_f64 v[50:51], v[62:63], -v[86:87]
	v_add_f64 v[56:57], v[46:47], v[62:63]
	v_fma_f64 v[54:55], v[6:7], -0.5, v[2:3]
	v_fma_f64 v[40:41], v[10:11], v[69:70], -v[58:59]
	v_fma_f64 v[8:9], v[8:9], -0.5, v[44:45]
	v_add_f64 v[44:45], v[44:45], v[24:25]
	v_add_f64 v[10:11], v[20:21], -v[16:17]
	v_add_f64 v[58:59], v[34:35], -v[18:19]
	v_fma_f64 v[46:47], v[48:49], -0.5, v[46:47]
	v_add_f64 v[56:57], v[56:57], v[86:87]
	v_fma_f64 v[6:7], v[50:51], s[6:7], v[54:55]
	v_fma_f64 v[54:55], v[50:51], s[4:5], v[54:55]
	v_add_f64 v[48:49], v[12:13], v[52:53]
	v_add_f64 v[44:45], v[44:45], v[36:37]
	;; [unrolled: 1-line block ×3, first 2 shown]
	v_fma_f64 v[69:70], v[10:11], s[4:5], v[8:9]
	v_fma_f64 v[71:72], v[10:11], s[6:7], v[8:9]
	;; [unrolled: 1-line block ×3, first 2 shown]
	v_mul_f64 v[73:74], v[6:7], s[4:5]
	v_fma_f64 v[10:11], v[58:59], s[6:7], v[46:47]
	v_add_f64 v[75:76], v[32:33], -v[40:41]
	v_add_f64 v[77:78], v[44:45], v[56:57]
	v_add_f64 v[79:80], v[44:45], -v[56:57]
	v_mul_f64 v[56:57], v[54:55], s[4:5]
	v_fma_f64 v[48:49], v[48:49], -0.5, v[14:15]
	v_add_f64 v[58:59], v[12:13], -v[52:53]
	v_fma_f64 v[62:63], v[62:63], -0.5, v[30:31]
	v_fma_f64 v[73:74], v[8:9], 0.5, v[73:74]
	v_fma_f64 v[56:57], v[10:11], -0.5, v[56:57]
	v_fma_f64 v[44:45], v[75:76], s[4:5], v[48:49]
	v_fma_f64 v[46:47], v[75:76], s[6:7], v[48:49]
	;; [unrolled: 1-line block ×4, first 2 shown]
	v_add_f64 v[58:59], v[69:70], v[73:74]
	v_add_f64 v[62:63], v[69:70], -v[73:74]
	v_add_f64 v[69:70], v[71:72], v[56:57]
	v_add_f64 v[71:72], v[71:72], -v[56:57]
	v_mov_b32_e32 v57, 3
	v_mul_u32_u24_e32 v56, 0x1e0, v88
	v_lshlrev_b32_sdwa v73, v57, v89 dst_sel:DWORD dst_unused:UNUSED_PAD src0_sel:DWORD src1_sel:BYTE_0
	v_add3_u32 v56, 0, v56, v73
	ds_write2_b64 v56, v[77:78], v[58:59] offset1:10
	ds_write2_b64 v56, v[69:70], v[79:80] offset0:20 offset1:30
	ds_write2_b64 v56, v[62:63], v[71:72] offset0:40 offset1:50
	s_and_saveexec_b64 s[10:11], vcc
	s_cbranch_execz .LBB0_17
; %bb.16:
	v_add_f64 v[58:59], v[22:23], v[42:43]
	v_add_f64 v[62:63], v[26:27], -v[38:39]
	v_mul_f64 v[69:70], v[48:49], s[4:5]
	v_add_f64 v[71:72], v[28:29], v[22:23]
	v_add_f64 v[12:13], v[14:15], v[12:13]
	v_mul_f64 v[14:15], v[50:51], s[4:5]
	v_fma_f64 v[28:29], v[58:59], -0.5, v[28:29]
	v_fma_f64 v[58:59], v[46:47], -0.5, v[69:70]
	v_add_f64 v[69:70], v[71:72], v[42:43]
	v_add_f64 v[12:13], v[12:13], v[52:53]
	v_fma_f64 v[14:15], v[44:45], 0.5, v[14:15]
	v_fma_f64 v[52:53], v[62:63], s[6:7], v[28:29]
	v_fma_f64 v[28:29], v[62:63], s[4:5], v[28:29]
	v_add_f64 v[62:63], v[69:70], -v[12:13]
	v_add_f64 v[12:13], v[69:70], v[12:13]
	v_add_f64 v[69:70], v[52:53], -v[58:59]
	v_add_f64 v[71:72], v[28:29], v[14:15]
	v_add_f64 v[52:53], v[52:53], v[58:59]
	v_add_f64 v[14:15], v[28:29], -v[14:15]
	v_mul_u32_u24_e32 v28, 0x1e0, v60
	v_lshlrev_b32_sdwa v29, v57, v61 dst_sel:DWORD dst_unused:UNUSED_PAD src0_sel:DWORD src1_sel:BYTE_0
	v_add3_u32 v28, 0, v28, v29
	ds_write2_b64 v28, v[12:13], v[71:72] offset1:10
	ds_write2_b64 v28, v[52:53], v[62:63] offset0:20 offset1:30
	ds_write2_b64 v28, v[14:15], v[69:70] offset0:40 offset1:50
.LBB0_17:
	s_or_b64 exec, exec, s[10:11]
	v_add_f64 v[12:13], v[20:21], v[16:17]
	v_add_f64 v[14:15], v[0:1], v[20:21]
	v_add_f64 v[20:21], v[24:25], -v[36:37]
	v_add_f64 v[24:25], v[2:3], v[34:35]
	v_mul_f64 v[6:7], v[6:7], 0.5
	v_mul_f64 v[28:29], v[54:55], -0.5
	s_waitcnt lgkmcnt(0)
	; wave barrier
	s_waitcnt lgkmcnt(0)
	v_fma_f64 v[12:13], v[12:13], -0.5, v[0:1]
	v_add_f64 v[34:35], v[14:15], v[16:17]
	ds_read2_b64 v[0:3], v85 offset1:120
	v_add_f64 v[18:19], v[24:25], v[18:19]
	v_fma_f64 v[36:37], v[8:9], s[6:7], v[6:7]
	v_fma_f64 v[10:11], v[10:11], s[6:7], v[28:29]
	v_lshl_add_u32 v24, v68, 3, 0
	ds_read2_b64 v[6:9], v85 offset0:180 offset1:240
	v_fma_f64 v[28:29], v[20:21], s[6:7], v[12:13]
	v_fma_f64 v[12:13], v[20:21], s[4:5], v[12:13]
	v_add_u32_e32 v20, 0x800, v85
	v_add_f64 v[52:53], v[34:35], v[18:19]
	v_add_f64 v[34:35], v[34:35], -v[18:19]
	ds_read2_b64 v[14:17], v20 offset0:44 offset1:104
	v_add_f64 v[54:55], v[28:29], v[36:37]
	v_add_f64 v[57:58], v[12:13], v[10:11]
	v_add_f64 v[28:29], v[28:29], -v[36:37]
	v_add_f64 v[36:37], v[12:13], -v[10:11]
	ds_read2_b64 v[10:13], v20 offset0:164 offset1:224
	ds_read_b64 v[18:19], v24 offset:480
	ds_read_b64 v[20:21], v85 offset:4320
	s_waitcnt lgkmcnt(0)
	; wave barrier
	s_waitcnt lgkmcnt(0)
	ds_write2_b64 v56, v[52:53], v[54:55] offset1:10
	ds_write2_b64 v56, v[57:58], v[34:35] offset0:20 offset1:30
	ds_write2_b64 v56, v[28:29], v[36:37] offset0:40 offset1:50
	s_and_saveexec_b64 s[4:5], vcc
	s_cbranch_execz .LBB0_19
; %bb.18:
	v_add_f64 v[28:29], v[26:27], v[38:39]
	v_add_f64 v[25:26], v[4:5], v[26:27]
	v_add_f64 v[22:23], v[22:23], -v[42:43]
	v_add_f64 v[30:31], v[30:31], v[32:33]
	v_mul_f64 v[32:33], v[50:51], 0.5
	v_mul_f64 v[34:35], v[48:49], -0.5
	s_mov_b32 s6, 0xe8584caa
	s_mov_b32 s7, 0x3febb67a
	v_fma_f64 v[4:5], v[28:29], -0.5, v[4:5]
	s_mov_b32 s11, 0xbfebb67a
	s_mov_b32 s10, s6
	v_add_f64 v[25:26], v[25:26], v[38:39]
	v_add_f64 v[27:28], v[30:31], v[40:41]
	v_fma_f64 v[29:30], v[44:45], s[6:7], v[32:33]
	v_fma_f64 v[31:32], v[46:47], s[6:7], v[34:35]
	;; [unrolled: 1-line block ×4, first 2 shown]
	v_add_f64 v[22:23], v[25:26], v[27:28]
	v_add_f64 v[25:26], v[25:26], -v[27:28]
	v_add_f64 v[27:28], v[33:34], v[29:30]
	v_add_f64 v[35:36], v[4:5], v[31:32]
	v_add_f64 v[29:30], v[33:34], -v[29:30]
	v_add_f64 v[4:5], v[4:5], -v[31:32]
	v_mov_b32_e32 v32, 3
	v_mul_u32_u24_e32 v31, 0x1e0, v60
	v_lshlrev_b32_sdwa v32, v32, v61 dst_sel:DWORD dst_unused:UNUSED_PAD src0_sel:DWORD src1_sel:BYTE_0
	v_add3_u32 v31, 0, v31, v32
	ds_write2_b64 v31, v[22:23], v[27:28] offset1:10
	ds_write2_b64 v31, v[35:36], v[25:26] offset0:20 offset1:30
	ds_write2_b64 v31, v[29:30], v[4:5] offset0:40 offset1:50
.LBB0_19:
	s_or_b64 exec, exec, s[4:5]
	s_waitcnt lgkmcnt(0)
	; wave barrier
	s_waitcnt lgkmcnt(0)
	s_and_saveexec_b64 s[4:5], s[0:1]
	s_cbranch_execz .LBB0_21
; %bb.20:
	v_mul_u32_u24_e32 v4, 9, v68
	v_lshlrev_b32_e32 v4, 4, v4
	global_load_dwordx4 v[25:28], v4, s[8:9] offset:880
	global_load_dwordx4 v[29:32], v4, s[8:9] offset:864
	global_load_dwordx4 v[33:36], v4, s[8:9] offset:912
	global_load_dwordx4 v[37:40], v4, s[8:9] offset:848
	global_load_dwordx4 v[41:44], v4, s[8:9] offset:816
	global_load_dwordx4 v[45:48], v4, s[8:9] offset:832
	global_load_dwordx4 v[49:52], v4, s[8:9] offset:896
	global_load_dwordx4 v[53:56], v4, s[8:9] offset:928
	global_load_dwordx4 v[57:60], v4, s[8:9] offset:800
	v_add_u32_e32 v63, 0x800, v85
	ds_read2_b64 v[68:71], v63 offset0:44 offset1:104
	ds_read2_b64 v[72:75], v85 offset1:120
	ds_read_b64 v[78:79], v85 offset:4320
	s_mov_b32 s4, 0x134454ff
	s_mov_b32 s5, 0xbfee6f0e
	;; [unrolled: 1-line block ×16, first 2 shown]
	s_waitcnt vmcnt(8) lgkmcnt(2)
	v_mul_f64 v[4:5], v[70:71], v[27:28]
	v_mul_f64 v[22:23], v[16:17], v[27:28]
	s_waitcnt vmcnt(7)
	v_mul_f64 v[61:62], v[14:15], v[29:30]
	v_mul_f64 v[76:77], v[14:15], v[31:32]
	v_fma_f64 v[4:5], v[16:17], v[25:26], v[4:5]
	ds_read2_b64 v[14:17], v85 offset0:180 offset1:240
	v_fma_f64 v[22:23], v[70:71], v[25:26], -v[22:23]
	ds_read2_b64 v[25:28], v63 offset0:164 offset1:224
	ds_read_b64 v[70:71], v24 offset:480
	v_fma_f64 v[31:32], v[68:69], v[31:32], v[61:62]
	v_fma_f64 v[29:30], v[68:69], v[29:30], -v[76:77]
	s_waitcnt vmcnt(6)
	v_mul_f64 v[61:62], v[12:13], v[35:36]
	s_waitcnt lgkmcnt(1)
	v_mul_f64 v[35:36], v[27:28], v[35:36]
	s_waitcnt vmcnt(5)
	v_mul_f64 v[68:69], v[8:9], v[39:40]
	v_mul_f64 v[39:40], v[16:17], v[39:40]
	v_fma_f64 v[27:28], v[27:28], v[33:34], -v[61:62]
	v_fma_f64 v[12:13], v[12:13], v[33:34], v[35:36]
	s_waitcnt vmcnt(4)
	v_mul_f64 v[33:34], v[2:3], v[43:44]
	v_mul_f64 v[35:36], v[74:75], v[43:44]
	v_fma_f64 v[16:17], v[16:17], v[37:38], -v[68:69]
	v_fma_f64 v[8:9], v[8:9], v[37:38], v[39:40]
	s_waitcnt vmcnt(3)
	v_mul_f64 v[37:38], v[6:7], v[45:46]
	s_waitcnt vmcnt(2)
	v_mul_f64 v[39:40], v[10:11], v[49:50]
	;; [unrolled: 2-line block ×3, first 2 shown]
	v_mul_f64 v[10:11], v[10:11], v[51:52]
	v_mul_f64 v[6:7], v[6:7], v[47:48]
	;; [unrolled: 1-line block ×3, first 2 shown]
	s_waitcnt vmcnt(0)
	v_mul_f64 v[61:62], v[18:19], v[57:58]
	v_mul_f64 v[18:19], v[18:19], v[59:60]
	v_fma_f64 v[33:34], v[74:75], v[41:42], -v[33:34]
	v_fma_f64 v[35:36], v[2:3], v[41:42], v[35:36]
	v_fma_f64 v[37:38], v[14:15], v[47:48], v[37:38]
	;; [unrolled: 1-line block ×4, first 2 shown]
	v_fma_f64 v[2:3], v[25:26], v[49:50], -v[10:11]
	v_fma_f64 v[6:7], v[14:15], v[45:46], -v[6:7]
	;; [unrolled: 1-line block ×3, first 2 shown]
	s_waitcnt lgkmcnt(0)
	v_fma_f64 v[18:19], v[70:71], v[57:58], -v[18:19]
	v_fma_f64 v[10:11], v[70:71], v[59:60], v[61:62]
	v_add_f64 v[49:50], v[37:38], -v[31:32]
	v_add_f64 v[57:58], v[33:34], v[27:28]
	v_add_f64 v[51:52], v[41:42], -v[39:40]
	v_add_f64 v[70:71], v[16:17], -v[33:34]
	v_add_f64 v[59:60], v[6:7], -v[29:30]
	v_add_f64 v[61:62], v[14:15], -v[2:3]
	v_add_f64 v[74:75], v[22:23], -v[27:28]
	v_add_f64 v[20:21], v[33:34], -v[16:17]
	v_add_f64 v[24:25], v[27:28], -v[22:23]
	v_add_f64 v[43:44], v[16:17], v[22:23]
	v_add_f64 v[68:69], v[29:30], v[2:3]
	;; [unrolled: 1-line block ×4, first 2 shown]
	v_add_f64 v[47:48], v[8:9], -v[4:5]
	v_add_f64 v[55:56], v[31:32], v[39:40]
	v_add_f64 v[76:77], v[31:32], -v[37:38]
	v_fma_f64 v[57:58], v[57:58], -0.5, v[72:73]
	v_add_f64 v[78:79], v[39:40], -v[41:42]
	v_add_f64 v[59:60], v[59:60], v[61:62]
	v_add_f64 v[61:62], v[29:30], -v[6:7]
	v_add_f64 v[70:71], v[70:71], v[74:75]
	v_add_f64 v[74:75], v[2:3], -v[14:15]
	v_add_f64 v[45:46], v[35:36], -v[12:13]
	;; [unrolled: 1-line block ×3, first 2 shown]
	v_fma_f64 v[43:44], v[43:44], -0.5, v[72:73]
	v_add_f64 v[20:21], v[20:21], v[24:25]
	v_add_f64 v[24:25], v[37:38], v[41:42]
	;; [unrolled: 1-line block ×3, first 2 shown]
	v_fma_f64 v[68:69], v[68:69], -0.5, v[18:19]
	v_add_f64 v[80:81], v[37:38], -v[41:42]
	v_add_f64 v[76:77], v[76:77], v[78:79]
	v_add_f64 v[78:79], v[6:7], -v[14:15]
	v_fma_f64 v[55:56], v[55:56], -0.5, v[10:11]
	v_add_f64 v[61:62], v[61:62], v[74:75]
	v_fma_f64 v[74:75], v[47:48], s[8:9], v[57:58]
	v_fma_f64 v[57:58], v[47:48], s[4:5], v[57:58]
	v_add_f64 v[72:73], v[33:34], v[72:73]
	v_add_f64 v[6:7], v[6:7], v[14:15]
	v_fma_f64 v[24:25], v[24:25], -0.5, v[10:11]
	v_add_f64 v[51:52], v[31:32], -v[39:40]
	v_add_f64 v[29:30], v[2:3], v[29:30]
	v_fma_f64 v[2:3], v[45:46], s[4:5], v[43:44]
	v_fma_f64 v[43:44], v[45:46], s[8:9], v[43:44]
	;; [unrolled: 1-line block ×7, first 2 shown]
	v_fma_f64 v[6:7], v[6:7], -0.5, v[18:19]
	v_fma_f64 v[18:19], v[53:54], s[4:5], v[24:25]
	v_fma_f64 v[24:25], v[53:54], s[8:9], v[24:25]
	;; [unrolled: 1-line block ×5, first 2 shown]
	v_add_f64 v[72:73], v[16:17], v[72:73]
	v_fma_f64 v[68:69], v[80:81], s[8:9], v[68:69]
	v_fma_f64 v[57:58], v[53:54], s[6:7], v[57:58]
	;; [unrolled: 1-line block ×3, first 2 shown]
	v_add_f64 v[55:56], v[8:9], v[4:5]
	v_fma_f64 v[18:19], v[78:79], s[6:7], v[18:19]
	v_fma_f64 v[24:25], v[78:79], s[0:1], v[24:25]
	;; [unrolled: 1-line block ×5, first 2 shown]
	v_add_f64 v[72:73], v[22:23], v[72:73]
	v_fma_f64 v[51:52], v[51:52], s[6:7], v[68:69]
	v_add_f64 v[33:34], v[33:34], -v[27:28]
	v_fma_f64 v[55:56], v[55:56], -0.5, v[0:1]
	v_fma_f64 v[57:58], v[49:50], s[10:11], v[57:58]
	v_fma_f64 v[78:79], v[80:81], s[0:1], v[78:79]
	v_fma_f64 v[6:7], v[80:81], s[6:7], v[6:7]
	v_fma_f64 v[68:69], v[70:71], s[10:11], v[74:75]
	v_mul_f64 v[74:75], v[47:48], s[14:15]
	v_fma_f64 v[80:81], v[20:21], s[10:11], v[2:3]
	v_fma_f64 v[20:21], v[20:21], s[10:11], v[43:44]
	;; [unrolled: 1-line block ×3, first 2 shown]
	v_add_f64 v[53:54], v[27:28], v[72:73]
	v_add_f64 v[28:29], v[14:15], v[29:30]
	v_mul_f64 v[14:15], v[47:48], s[0:1]
	v_add_f64 v[26:27], v[35:36], v[12:13]
	v_fma_f64 v[18:19], v[76:77], s[10:11], v[18:19]
	v_fma_f64 v[24:25], v[76:77], s[10:11], v[24:25]
	v_add_f64 v[76:77], v[35:36], -v[8:9]
	v_fma_f64 v[49:50], v[59:60], s[10:11], v[51:52]
	v_add_f64 v[51:52], v[12:13], -v[4:5]
	v_add_f64 v[16:17], v[16:17], -v[22:23]
	v_fma_f64 v[22:23], v[33:34], s[8:9], v[55:56]
	v_fma_f64 v[74:75], v[57:58], s[6:7], v[74:75]
	;; [unrolled: 1-line block ×3, first 2 shown]
	v_fma_f64 v[14:15], v[26:27], -0.5, v[0:1]
	v_add_f64 v[0:1], v[0:1], v[35:36]
	v_add_f64 v[10:11], v[37:38], v[10:11]
	;; [unrolled: 1-line block ×3, first 2 shown]
	v_fma_f64 v[78:79], v[61:62], s[10:11], v[78:79]
	v_fma_f64 v[22:23], v[16:17], s[6:7], v[22:23]
	v_mul_f64 v[26:27], v[49:50], s[16:17]
	v_add_f64 v[35:36], v[8:9], -v[35:36]
	v_add_f64 v[59:60], v[4:5], -v[12:13]
	v_fma_f64 v[37:38], v[16:17], s[4:5], v[14:15]
	v_add_f64 v[0:1], v[0:1], v[8:9]
	v_add_f64 v[8:9], v[31:32], v[10:11]
	v_fma_f64 v[61:62], v[61:62], s[10:11], v[6:7]
	v_fma_f64 v[14:15], v[16:17], s[8:9], v[14:15]
	;; [unrolled: 1-line block ×5, first 2 shown]
	v_add_f64 v[26:27], v[35:36], v[59:60]
	v_fma_f64 v[10:11], v[33:34], s[6:7], v[37:38]
	v_mul_f64 v[30:31], v[78:79], s[4:5]
	v_add_f64 v[0:1], v[0:1], v[4:5]
	v_add_f64 v[4:5], v[39:40], v[8:9]
	v_fma_f64 v[14:15], v[33:34], s[0:1], v[14:15]
	v_mul_f64 v[32:33], v[61:62], s[4:5]
	v_fma_f64 v[16:17], v[16:17], s[0:1], v[22:23]
	v_mul_f64 v[22:23], v[49:50], s[0:1]
	v_mul_f64 v[51:52], v[61:62], s[10:11]
	v_fma_f64 v[45:46], v[70:71], s[10:11], v[45:46]
	v_mul_f64 v[70:71], v[78:79], s[12:13]
	v_fma_f64 v[36:37], v[26:27], s[10:11], v[10:11]
	v_fma_f64 v[49:50], v[18:19], s[12:13], v[30:31]
	v_add_f64 v[59:60], v[12:13], v[0:1]
	v_add_f64 v[40:41], v[41:42], v[4:5]
	v_fma_f64 v[55:56], v[26:27], s[10:11], v[14:15]
	v_fma_f64 v[32:33], v[24:25], s[10:11], v[32:33]
	;; [unrolled: 1-line block ×6, first 2 shown]
	v_add_f64 v[4:5], v[36:37], -v[49:50]
	v_add_f64 v[38:39], v[53:54], v[28:29]
	v_add_f64 v[24:25], v[36:37], v[49:50]
	;; [unrolled: 1-line block ×3, first 2 shown]
	v_add_f64 v[18:19], v[53:54], -v[28:29]
	v_add_f64 v[8:9], v[55:56], -v[32:33]
	v_add_f64 v[34:35], v[20:21], v[72:73]
	v_add_f64 v[28:29], v[55:56], v[32:33]
	;; [unrolled: 1-line block ×3, first 2 shown]
	v_add_f64 v[16:17], v[59:60], -v[40:41]
	v_add_f64 v[30:31], v[45:46], v[51:52]
	v_add_f64 v[14:15], v[20:21], -v[72:73]
	v_add_f64 v[12:13], v[47:48], -v[43:44]
	v_add_f64 v[26:27], v[68:69], v[70:71]
	v_mov_b32_e32 v40, s3
	v_add_co_u32_e32 v42, vcc, s2, v64
	v_add_f64 v[2:3], v[80:81], -v[74:75]
	v_add_f64 v[10:11], v[45:46], -v[51:52]
	;; [unrolled: 1-line block ×3, first 2 shown]
	v_add_f64 v[22:23], v[80:81], v[74:75]
	v_add_f64 v[20:21], v[76:77], v[57:58]
	v_addc_co_u32_e32 v43, vcc, v40, v65, vcc
	v_lshlrev_b64 v[40:41], 4, v[66:67]
	v_add_f64 v[6:7], v[68:69], -v[70:71]
	v_add_co_u32_e32 v40, vcc, v42, v40
	v_addc_co_u32_e32 v41, vcc, v43, v41, vcc
	s_movk_i32 s0, 0x1000
	global_store_dwordx4 v[40:41], v[36:39], off
	global_store_dwordx4 v[40:41], v[32:35], off offset:960
	global_store_dwordx4 v[40:41], v[28:31], off offset:1920
	;; [unrolled: 1-line block ×4, first 2 shown]
	s_nop 0
	v_add_co_u32_e32 v20, vcc, s0, v40
	v_addc_co_u32_e32 v21, vcc, 0, v41, vcc
	global_store_dwordx4 v[20:21], v[16:19], off offset:704
	global_store_dwordx4 v[20:21], v[12:15], off offset:1664
	;; [unrolled: 1-line block ×4, first 2 shown]
	s_nop 0
	v_add_co_u32_e32 v4, vcc, 0x2000, v40
	v_addc_co_u32_e32 v5, vcc, 0, v41, vcc
	global_store_dwordx4 v[4:5], v[0:3], off offset:448
.LBB0_21:
	s_endpgm
	.section	.rodata,"a",@progbits
	.p2align	6, 0x0
	.amdhsa_kernel fft_rtc_back_len600_factors_10_6_10_wgs_60_tpt_60_halfLds_dp_ip_CI_unitstride_sbrr_dirReg
		.amdhsa_group_segment_fixed_size 0
		.amdhsa_private_segment_fixed_size 0
		.amdhsa_kernarg_size 88
		.amdhsa_user_sgpr_count 6
		.amdhsa_user_sgpr_private_segment_buffer 1
		.amdhsa_user_sgpr_dispatch_ptr 0
		.amdhsa_user_sgpr_queue_ptr 0
		.amdhsa_user_sgpr_kernarg_segment_ptr 1
		.amdhsa_user_sgpr_dispatch_id 0
		.amdhsa_user_sgpr_flat_scratch_init 0
		.amdhsa_user_sgpr_private_segment_size 0
		.amdhsa_uses_dynamic_stack 0
		.amdhsa_system_sgpr_private_segment_wavefront_offset 0
		.amdhsa_system_sgpr_workgroup_id_x 1
		.amdhsa_system_sgpr_workgroup_id_y 0
		.amdhsa_system_sgpr_workgroup_id_z 0
		.amdhsa_system_sgpr_workgroup_info 0
		.amdhsa_system_vgpr_workitem_id 0
		.amdhsa_next_free_vgpr 90
		.amdhsa_next_free_sgpr 22
		.amdhsa_reserve_vcc 1
		.amdhsa_reserve_flat_scratch 0
		.amdhsa_float_round_mode_32 0
		.amdhsa_float_round_mode_16_64 0
		.amdhsa_float_denorm_mode_32 3
		.amdhsa_float_denorm_mode_16_64 3
		.amdhsa_dx10_clamp 1
		.amdhsa_ieee_mode 1
		.amdhsa_fp16_overflow 0
		.amdhsa_exception_fp_ieee_invalid_op 0
		.amdhsa_exception_fp_denorm_src 0
		.amdhsa_exception_fp_ieee_div_zero 0
		.amdhsa_exception_fp_ieee_overflow 0
		.amdhsa_exception_fp_ieee_underflow 0
		.amdhsa_exception_fp_ieee_inexact 0
		.amdhsa_exception_int_div_zero 0
	.end_amdhsa_kernel
	.text
.Lfunc_end0:
	.size	fft_rtc_back_len600_factors_10_6_10_wgs_60_tpt_60_halfLds_dp_ip_CI_unitstride_sbrr_dirReg, .Lfunc_end0-fft_rtc_back_len600_factors_10_6_10_wgs_60_tpt_60_halfLds_dp_ip_CI_unitstride_sbrr_dirReg
                                        ; -- End function
	.section	.AMDGPU.csdata,"",@progbits
; Kernel info:
; codeLenInByte = 6460
; NumSgprs: 26
; NumVgprs: 90
; ScratchSize: 0
; MemoryBound: 1
; FloatMode: 240
; IeeeMode: 1
; LDSByteSize: 0 bytes/workgroup (compile time only)
; SGPRBlocks: 3
; VGPRBlocks: 22
; NumSGPRsForWavesPerEU: 26
; NumVGPRsForWavesPerEU: 90
; Occupancy: 2
; WaveLimiterHint : 1
; COMPUTE_PGM_RSRC2:SCRATCH_EN: 0
; COMPUTE_PGM_RSRC2:USER_SGPR: 6
; COMPUTE_PGM_RSRC2:TRAP_HANDLER: 0
; COMPUTE_PGM_RSRC2:TGID_X_EN: 1
; COMPUTE_PGM_RSRC2:TGID_Y_EN: 0
; COMPUTE_PGM_RSRC2:TGID_Z_EN: 0
; COMPUTE_PGM_RSRC2:TIDIG_COMP_CNT: 0
	.type	__hip_cuid_334e88321fcfa9ff,@object ; @__hip_cuid_334e88321fcfa9ff
	.section	.bss,"aw",@nobits
	.globl	__hip_cuid_334e88321fcfa9ff
__hip_cuid_334e88321fcfa9ff:
	.byte	0                               ; 0x0
	.size	__hip_cuid_334e88321fcfa9ff, 1

	.ident	"AMD clang version 19.0.0git (https://github.com/RadeonOpenCompute/llvm-project roc-6.4.0 25133 c7fe45cf4b819c5991fe208aaa96edf142730f1d)"
	.section	".note.GNU-stack","",@progbits
	.addrsig
	.addrsig_sym __hip_cuid_334e88321fcfa9ff
	.amdgpu_metadata
---
amdhsa.kernels:
  - .args:
      - .actual_access:  read_only
        .address_space:  global
        .offset:         0
        .size:           8
        .value_kind:     global_buffer
      - .offset:         8
        .size:           8
        .value_kind:     by_value
      - .actual_access:  read_only
        .address_space:  global
        .offset:         16
        .size:           8
        .value_kind:     global_buffer
      - .actual_access:  read_only
        .address_space:  global
        .offset:         24
        .size:           8
        .value_kind:     global_buffer
      - .offset:         32
        .size:           8
        .value_kind:     by_value
      - .actual_access:  read_only
        .address_space:  global
        .offset:         40
        .size:           8
        .value_kind:     global_buffer
      - .actual_access:  read_only
        .address_space:  global
        .offset:         48
        .size:           8
        .value_kind:     global_buffer
      - .offset:         56
        .size:           4
        .value_kind:     by_value
      - .actual_access:  read_only
        .address_space:  global
        .offset:         64
        .size:           8
        .value_kind:     global_buffer
      - .actual_access:  read_only
        .address_space:  global
        .offset:         72
        .size:           8
        .value_kind:     global_buffer
      - .address_space:  global
        .offset:         80
        .size:           8
        .value_kind:     global_buffer
    .group_segment_fixed_size: 0
    .kernarg_segment_align: 8
    .kernarg_segment_size: 88
    .language:       OpenCL C
    .language_version:
      - 2
      - 0
    .max_flat_workgroup_size: 60
    .name:           fft_rtc_back_len600_factors_10_6_10_wgs_60_tpt_60_halfLds_dp_ip_CI_unitstride_sbrr_dirReg
    .private_segment_fixed_size: 0
    .sgpr_count:     26
    .sgpr_spill_count: 0
    .symbol:         fft_rtc_back_len600_factors_10_6_10_wgs_60_tpt_60_halfLds_dp_ip_CI_unitstride_sbrr_dirReg.kd
    .uniform_work_group_size: 1
    .uses_dynamic_stack: false
    .vgpr_count:     90
    .vgpr_spill_count: 0
    .wavefront_size: 64
amdhsa.target:   amdgcn-amd-amdhsa--gfx906
amdhsa.version:
  - 1
  - 2
...

	.end_amdgpu_metadata
